;; amdgpu-corpus repo=ROCm/rocFFT kind=compiled arch=gfx1201 opt=O3
	.text
	.amdgcn_target "amdgcn-amd-amdhsa--gfx1201"
	.amdhsa_code_object_version 6
	.protected	fft_rtc_back_len810_factors_3_10_3_3_3_wgs_81_tpt_81_halfLds_half_op_CI_CI_sbrr_dirReg ; -- Begin function fft_rtc_back_len810_factors_3_10_3_3_3_wgs_81_tpt_81_halfLds_half_op_CI_CI_sbrr_dirReg
	.globl	fft_rtc_back_len810_factors_3_10_3_3_3_wgs_81_tpt_81_halfLds_half_op_CI_CI_sbrr_dirReg
	.p2align	8
	.type	fft_rtc_back_len810_factors_3_10_3_3_3_wgs_81_tpt_81_halfLds_half_op_CI_CI_sbrr_dirReg,@function
fft_rtc_back_len810_factors_3_10_3_3_3_wgs_81_tpt_81_halfLds_half_op_CI_CI_sbrr_dirReg: ; @fft_rtc_back_len810_factors_3_10_3_3_3_wgs_81_tpt_81_halfLds_half_op_CI_CI_sbrr_dirReg
; %bb.0:
	s_clause 0x2
	s_load_b128 s[12:15], s[0:1], 0x18
	s_load_b128 s[4:7], s[0:1], 0x0
	;; [unrolled: 1-line block ×3, first 2 shown]
	v_mul_u32_u24_e32 v1, 0x32a, v0
	v_mov_b32_e32 v7, 0
	v_mov_b32_e32 v5, 0
	;; [unrolled: 1-line block ×3, first 2 shown]
	s_wait_kmcnt 0x0
	s_load_b64 s[18:19], s[12:13], 0x0
	s_load_b64 s[16:17], s[14:15], 0x0
	v_lshrrev_b32_e32 v1, 16, v1
	v_cmp_lt_u64_e64 s2, s[6:7], 2
	s_delay_alu instid0(VALU_DEP_2) | instskip(NEXT) | instid1(VALU_DEP_2)
	v_dual_mov_b32 v10, v7 :: v_dual_add_nc_u32 v9, ttmp9, v1
	s_and_b32 vcc_lo, exec_lo, s2
	s_cbranch_vccnz .LBB0_8
; %bb.1:
	s_load_b64 s[2:3], s[0:1], 0x10
	v_mov_b32_e32 v5, 0
	v_mov_b32_e32 v6, 0
	s_delay_alu instid0(VALU_DEP_2)
	v_mov_b32_e32 v1, v5
	s_add_nc_u64 s[20:21], s[14:15], 8
	s_add_nc_u64 s[22:23], s[12:13], 8
	s_mov_b64 s[24:25], 1
	v_mov_b32_e32 v2, v6
	s_wait_kmcnt 0x0
	s_add_nc_u64 s[26:27], s[2:3], 8
	s_mov_b32 s3, 0
.LBB0_2:                                ; =>This Inner Loop Header: Depth=1
	s_load_b64 s[28:29], s[26:27], 0x0
                                        ; implicit-def: $vgpr3_vgpr4
	s_mov_b32 s2, exec_lo
	s_wait_kmcnt 0x0
	v_or_b32_e32 v8, s29, v10
	s_delay_alu instid0(VALU_DEP_1)
	v_cmpx_ne_u64_e32 0, v[7:8]
	s_wait_alu 0xfffe
	s_xor_b32 s30, exec_lo, s2
	s_cbranch_execz .LBB0_4
; %bb.3:                                ;   in Loop: Header=BB0_2 Depth=1
	s_cvt_f32_u32 s2, s28
	s_cvt_f32_u32 s31, s29
	s_sub_nc_u64 s[36:37], 0, s[28:29]
	s_wait_alu 0xfffe
	s_delay_alu instid0(SALU_CYCLE_1) | instskip(SKIP_1) | instid1(SALU_CYCLE_2)
	s_fmamk_f32 s2, s31, 0x4f800000, s2
	s_wait_alu 0xfffe
	v_s_rcp_f32 s2, s2
	s_delay_alu instid0(TRANS32_DEP_1) | instskip(SKIP_1) | instid1(SALU_CYCLE_2)
	s_mul_f32 s2, s2, 0x5f7ffffc
	s_wait_alu 0xfffe
	s_mul_f32 s31, s2, 0x2f800000
	s_wait_alu 0xfffe
	s_delay_alu instid0(SALU_CYCLE_2) | instskip(SKIP_1) | instid1(SALU_CYCLE_2)
	s_trunc_f32 s31, s31
	s_wait_alu 0xfffe
	s_fmamk_f32 s2, s31, 0xcf800000, s2
	s_cvt_u32_f32 s35, s31
	s_wait_alu 0xfffe
	s_delay_alu instid0(SALU_CYCLE_1) | instskip(SKIP_1) | instid1(SALU_CYCLE_2)
	s_cvt_u32_f32 s34, s2
	s_wait_alu 0xfffe
	s_mul_u64 s[38:39], s[36:37], s[34:35]
	s_wait_alu 0xfffe
	s_mul_hi_u32 s41, s34, s39
	s_mul_i32 s40, s34, s39
	s_mul_hi_u32 s2, s34, s38
	s_mul_i32 s33, s35, s38
	s_wait_alu 0xfffe
	s_add_nc_u64 s[40:41], s[2:3], s[40:41]
	s_mul_hi_u32 s31, s35, s38
	s_mul_hi_u32 s42, s35, s39
	s_add_co_u32 s2, s40, s33
	s_wait_alu 0xfffe
	s_add_co_ci_u32 s2, s41, s31
	s_mul_i32 s38, s35, s39
	s_add_co_ci_u32 s39, s42, 0
	s_wait_alu 0xfffe
	s_add_nc_u64 s[38:39], s[2:3], s[38:39]
	s_wait_alu 0xfffe
	v_add_co_u32 v3, s2, s34, s38
	s_delay_alu instid0(VALU_DEP_1) | instskip(SKIP_1) | instid1(VALU_DEP_1)
	s_cmp_lg_u32 s2, 0
	s_add_co_ci_u32 s35, s35, s39
	v_readfirstlane_b32 s34, v3
	s_wait_alu 0xfffe
	s_delay_alu instid0(VALU_DEP_1)
	s_mul_u64 s[36:37], s[36:37], s[34:35]
	s_wait_alu 0xfffe
	s_mul_hi_u32 s39, s34, s37
	s_mul_i32 s38, s34, s37
	s_mul_hi_u32 s2, s34, s36
	s_mul_i32 s33, s35, s36
	s_wait_alu 0xfffe
	s_add_nc_u64 s[38:39], s[2:3], s[38:39]
	s_mul_hi_u32 s31, s35, s36
	s_mul_hi_u32 s34, s35, s37
	s_wait_alu 0xfffe
	s_add_co_u32 s2, s38, s33
	s_add_co_ci_u32 s2, s39, s31
	s_mul_i32 s36, s35, s37
	s_add_co_ci_u32 s37, s34, 0
	s_wait_alu 0xfffe
	s_add_nc_u64 s[36:37], s[2:3], s[36:37]
	s_wait_alu 0xfffe
	v_add_co_u32 v8, s2, v3, s36
	s_delay_alu instid0(VALU_DEP_1) | instskip(SKIP_1) | instid1(VALU_DEP_1)
	s_cmp_lg_u32 s2, 0
	s_add_co_ci_u32 s2, s35, s37
	v_mul_hi_u32 v15, v9, v8
	s_wait_alu 0xfffe
	v_mad_co_u64_u32 v[3:4], null, v9, s2, 0
	v_mad_co_u64_u32 v[11:12], null, v10, v8, 0
	;; [unrolled: 1-line block ×3, first 2 shown]
	s_delay_alu instid0(VALU_DEP_3) | instskip(SKIP_1) | instid1(VALU_DEP_4)
	v_add_co_u32 v3, vcc_lo, v15, v3
	s_wait_alu 0xfffd
	v_add_co_ci_u32_e32 v4, vcc_lo, 0, v4, vcc_lo
	s_delay_alu instid0(VALU_DEP_2) | instskip(SKIP_1) | instid1(VALU_DEP_2)
	v_add_co_u32 v3, vcc_lo, v3, v11
	s_wait_alu 0xfffd
	v_add_co_ci_u32_e32 v3, vcc_lo, v4, v12, vcc_lo
	s_wait_alu 0xfffd
	v_add_co_ci_u32_e32 v4, vcc_lo, 0, v14, vcc_lo
	s_delay_alu instid0(VALU_DEP_2) | instskip(SKIP_1) | instid1(VALU_DEP_2)
	v_add_co_u32 v8, vcc_lo, v3, v13
	s_wait_alu 0xfffd
	v_add_co_ci_u32_e32 v11, vcc_lo, 0, v4, vcc_lo
	s_delay_alu instid0(VALU_DEP_2) | instskip(SKIP_1) | instid1(VALU_DEP_3)
	v_mul_lo_u32 v12, s29, v8
	v_mad_co_u64_u32 v[3:4], null, s28, v8, 0
	v_mul_lo_u32 v13, s28, v11
	s_delay_alu instid0(VALU_DEP_2) | instskip(NEXT) | instid1(VALU_DEP_2)
	v_sub_co_u32 v3, vcc_lo, v9, v3
	v_add3_u32 v4, v4, v13, v12
	s_delay_alu instid0(VALU_DEP_1) | instskip(SKIP_1) | instid1(VALU_DEP_1)
	v_sub_nc_u32_e32 v12, v10, v4
	s_wait_alu 0xfffd
	v_subrev_co_ci_u32_e64 v12, s2, s29, v12, vcc_lo
	v_add_co_u32 v13, s2, v8, 2
	s_wait_alu 0xf1ff
	v_add_co_ci_u32_e64 v14, s2, 0, v11, s2
	v_sub_co_u32 v15, s2, v3, s28
	v_sub_co_ci_u32_e32 v4, vcc_lo, v10, v4, vcc_lo
	s_wait_alu 0xf1ff
	v_subrev_co_ci_u32_e64 v12, s2, 0, v12, s2
	s_delay_alu instid0(VALU_DEP_3) | instskip(NEXT) | instid1(VALU_DEP_3)
	v_cmp_le_u32_e32 vcc_lo, s28, v15
	v_cmp_eq_u32_e64 s2, s29, v4
	s_wait_alu 0xfffd
	v_cndmask_b32_e64 v15, 0, -1, vcc_lo
	v_cmp_le_u32_e32 vcc_lo, s29, v12
	s_wait_alu 0xfffd
	v_cndmask_b32_e64 v16, 0, -1, vcc_lo
	v_cmp_le_u32_e32 vcc_lo, s28, v3
	;; [unrolled: 3-line block ×3, first 2 shown]
	s_wait_alu 0xfffd
	v_cndmask_b32_e64 v17, 0, -1, vcc_lo
	v_cmp_eq_u32_e32 vcc_lo, s29, v12
	s_wait_alu 0xf1ff
	s_delay_alu instid0(VALU_DEP_2)
	v_cndmask_b32_e64 v3, v17, v3, s2
	s_wait_alu 0xfffd
	v_cndmask_b32_e32 v12, v16, v15, vcc_lo
	v_add_co_u32 v15, vcc_lo, v8, 1
	s_wait_alu 0xfffd
	v_add_co_ci_u32_e32 v16, vcc_lo, 0, v11, vcc_lo
	s_delay_alu instid0(VALU_DEP_3) | instskip(SKIP_1) | instid1(VALU_DEP_2)
	v_cmp_ne_u32_e32 vcc_lo, 0, v12
	s_wait_alu 0xfffd
	v_cndmask_b32_e32 v4, v16, v14, vcc_lo
	v_cndmask_b32_e32 v12, v15, v13, vcc_lo
	v_cmp_ne_u32_e32 vcc_lo, 0, v3
	s_wait_alu 0xfffd
	s_delay_alu instid0(VALU_DEP_3) | instskip(NEXT) | instid1(VALU_DEP_3)
	v_cndmask_b32_e32 v4, v11, v4, vcc_lo
	v_cndmask_b32_e32 v3, v8, v12, vcc_lo
.LBB0_4:                                ;   in Loop: Header=BB0_2 Depth=1
	s_wait_alu 0xfffe
	s_and_not1_saveexec_b32 s2, s30
	s_cbranch_execz .LBB0_6
; %bb.5:                                ;   in Loop: Header=BB0_2 Depth=1
	v_cvt_f32_u32_e32 v3, s28
	s_sub_co_i32 s30, 0, s28
	s_delay_alu instid0(VALU_DEP_1) | instskip(NEXT) | instid1(TRANS32_DEP_1)
	v_rcp_iflag_f32_e32 v3, v3
	v_mul_f32_e32 v3, 0x4f7ffffe, v3
	s_delay_alu instid0(VALU_DEP_1) | instskip(SKIP_1) | instid1(VALU_DEP_1)
	v_cvt_u32_f32_e32 v3, v3
	s_wait_alu 0xfffe
	v_mul_lo_u32 v4, s30, v3
	s_delay_alu instid0(VALU_DEP_1) | instskip(NEXT) | instid1(VALU_DEP_1)
	v_mul_hi_u32 v4, v3, v4
	v_add_nc_u32_e32 v3, v3, v4
	s_delay_alu instid0(VALU_DEP_1) | instskip(NEXT) | instid1(VALU_DEP_1)
	v_mul_hi_u32 v3, v9, v3
	v_mul_lo_u32 v4, v3, s28
	v_add_nc_u32_e32 v8, 1, v3
	s_delay_alu instid0(VALU_DEP_2) | instskip(NEXT) | instid1(VALU_DEP_1)
	v_sub_nc_u32_e32 v4, v9, v4
	v_subrev_nc_u32_e32 v11, s28, v4
	v_cmp_le_u32_e32 vcc_lo, s28, v4
	s_wait_alu 0xfffd
	s_delay_alu instid0(VALU_DEP_2) | instskip(NEXT) | instid1(VALU_DEP_1)
	v_dual_cndmask_b32 v4, v4, v11 :: v_dual_cndmask_b32 v3, v3, v8
	v_cmp_le_u32_e32 vcc_lo, s28, v4
	s_delay_alu instid0(VALU_DEP_2) | instskip(SKIP_2) | instid1(VALU_DEP_2)
	v_add_nc_u32_e32 v8, 1, v3
	v_mov_b32_e32 v4, v7
	s_wait_alu 0xfffd
	v_cndmask_b32_e32 v3, v3, v8, vcc_lo
.LBB0_6:                                ;   in Loop: Header=BB0_2 Depth=1
	s_wait_alu 0xfffe
	s_or_b32 exec_lo, exec_lo, s2
	v_mul_lo_u32 v8, v4, s28
	s_delay_alu instid0(VALU_DEP_2)
	v_mul_lo_u32 v13, v3, s29
	s_load_b64 s[30:31], s[22:23], 0x0
	v_mad_co_u64_u32 v[11:12], null, v3, s28, 0
	s_load_b64 s[28:29], s[20:21], 0x0
	s_add_nc_u64 s[24:25], s[24:25], 1
	s_add_nc_u64 s[20:21], s[20:21], 8
	s_wait_alu 0xfffe
	v_cmp_ge_u64_e64 s2, s[24:25], s[6:7]
	s_add_nc_u64 s[22:23], s[22:23], 8
	s_add_nc_u64 s[26:27], s[26:27], 8
	v_add3_u32 v8, v12, v13, v8
	v_sub_co_u32 v9, vcc_lo, v9, v11
	s_wait_alu 0xfffd
	s_delay_alu instid0(VALU_DEP_2) | instskip(SKIP_2) | instid1(VALU_DEP_1)
	v_sub_co_ci_u32_e32 v8, vcc_lo, v10, v8, vcc_lo
	s_and_b32 vcc_lo, exec_lo, s2
	s_wait_kmcnt 0x0
	v_mul_lo_u32 v10, s30, v8
	v_mul_lo_u32 v11, s31, v9
	v_mad_co_u64_u32 v[5:6], null, s30, v9, v[5:6]
	v_mul_lo_u32 v8, s28, v8
	v_mul_lo_u32 v12, s29, v9
	v_mad_co_u64_u32 v[1:2], null, s28, v9, v[1:2]
	s_delay_alu instid0(VALU_DEP_4) | instskip(NEXT) | instid1(VALU_DEP_2)
	v_add3_u32 v6, v11, v6, v10
	v_add3_u32 v2, v12, v2, v8
	s_wait_alu 0xfffe
	s_cbranch_vccnz .LBB0_9
; %bb.7:                                ;   in Loop: Header=BB0_2 Depth=1
	v_dual_mov_b32 v10, v4 :: v_dual_mov_b32 v9, v3
	s_branch .LBB0_2
.LBB0_8:
	v_dual_mov_b32 v1, v5 :: v_dual_mov_b32 v2, v6
	s_delay_alu instid0(VALU_DEP_2)
	v_dual_mov_b32 v3, v9 :: v_dual_mov_b32 v4, v10
.LBB0_9:
	s_load_b64 s[0:1], s[0:1], 0x28
	v_mul_hi_u32 v7, 0x3291620, v0
	s_lshl_b64 s[6:7], s[6:7], 3
                                        ; implicit-def: $vgpr9
                                        ; implicit-def: $vgpr10
                                        ; implicit-def: $vgpr11
	s_wait_alu 0xfffe
	s_add_nc_u64 s[2:3], s[14:15], s[6:7]
	s_wait_kmcnt 0x0
	v_cmp_gt_u64_e32 vcc_lo, s[0:1], v[3:4]
	v_cmp_le_u64_e64 s0, s[0:1], v[3:4]
	s_delay_alu instid0(VALU_DEP_1)
	s_and_saveexec_b32 s1, s0
	s_wait_alu 0xfffe
	s_xor_b32 s0, exec_lo, s1
; %bb.10:
	v_mul_u32_u24_e32 v5, 0x51, v7
                                        ; implicit-def: $vgpr7
	s_delay_alu instid0(VALU_DEP_1) | instskip(NEXT) | instid1(VALU_DEP_1)
	v_sub_nc_u32_e32 v9, v0, v5
                                        ; implicit-def: $vgpr0
                                        ; implicit-def: $vgpr5_vgpr6
	v_add_nc_u32_e32 v10, 0x51, v9
	v_add_nc_u32_e32 v11, 0xa2, v9
; %bb.11:
	s_wait_alu 0xfffe
	s_or_saveexec_b32 s1, s0
	s_load_b64 s[2:3], s[2:3], 0x0
                                        ; implicit-def: $vgpr23
                                        ; implicit-def: $vgpr22
                                        ; implicit-def: $vgpr21
                                        ; implicit-def: $vgpr19
                                        ; implicit-def: $vgpr12
                                        ; implicit-def: $vgpr26
                                        ; implicit-def: $vgpr30
                                        ; implicit-def: $vgpr14
                                        ; implicit-def: $vgpr31
                                        ; implicit-def: $vgpr13
                                        ; implicit-def: $vgpr27
                                        ; implicit-def: $vgpr20
                                        ; implicit-def: $vgpr32
                                        ; implicit-def: $vgpr15
                                        ; implicit-def: $vgpr34
                                        ; implicit-def: $vgpr16
                                        ; implicit-def: $vgpr28
                                        ; implicit-def: $vgpr24
                                        ; implicit-def: $vgpr33
                                        ; implicit-def: $vgpr17
                                        ; implicit-def: $vgpr35
                                        ; implicit-def: $vgpr18
                                        ; implicit-def: $vgpr29
                                        ; implicit-def: $vgpr25
	s_xor_b32 exec_lo, exec_lo, s1
	s_cbranch_execz .LBB0_15
; %bb.12:
	s_add_nc_u64 s[6:7], s[12:13], s[6:7]
	v_mul_u32_u24_e32 v7, 0x51, v7
	s_load_b64 s[6:7], s[6:7], 0x0
	v_lshlrev_b64_e32 v[5:6], 2, v[5:6]
	s_delay_alu instid0(VALU_DEP_2) | instskip(NEXT) | instid1(VALU_DEP_1)
	v_sub_nc_u32_e32 v9, v0, v7
	v_mad_co_u64_u32 v[7:8], null, s18, v9, 0
	v_add_nc_u32_e32 v21, 0x10e, v9
	v_add_nc_u32_e32 v22, 0x21c, v9
	;; [unrolled: 1-line block ×5, first 2 shown]
	v_mov_b32_e32 v0, v8
	v_mad_co_u64_u32 v[11:12], null, s18, v21, 0
	s_wait_kmcnt 0x0
	v_mul_lo_u32 v8, s7, v3
	v_mul_lo_u32 v23, s6, v4
	v_mad_co_u64_u32 v[17:18], null, s6, v3, 0
	v_mad_co_u64_u32 v[13:14], null, s18, v22, 0
	;; [unrolled: 1-line block ×4, first 2 shown]
	v_mov_b32_e32 v0, v12
	v_add3_u32 v18, v18, v23, v8
	v_mov_b32_e32 v12, v14
	s_mov_b32 s6, exec_lo
	v_mov_b32_e32 v14, v16
	v_mad_co_u64_u32 v[20:21], null, s19, v21, v[0:1]
	v_lshlrev_b64_e32 v[16:17], 2, v[17:18]
	v_mov_b32_e32 v8, v19
	v_mad_co_u64_u32 v[21:22], null, s19, v22, v[12:13]
	v_mad_co_u64_u32 v[18:19], null, s19, v10, v[14:15]
	s_delay_alu instid0(VALU_DEP_4)
	v_add_co_u32 v0, s0, s8, v16
	v_mov_b32_e32 v12, v20
	s_wait_alu 0xf1ff
	v_add_co_ci_u32_e64 v16, s0, s9, v17, s0
	v_lshlrev_b64_e32 v[7:8], 2, v[7:8]
	v_mad_co_u64_u32 v[19:20], null, s18, v24, 0
	v_add_co_u32 v0, s0, v0, v5
	s_wait_alu 0xf1ff
	v_add_co_ci_u32_e64 v5, s0, v16, v6, s0
	v_lshlrev_b64_e32 v[11:12], 2, v[11:12]
	s_delay_alu instid0(VALU_DEP_3) | instskip(SKIP_1) | instid1(VALU_DEP_3)
	v_add_co_u32 v6, s0, v0, v7
	s_wait_alu 0xf1ff
	v_add_co_ci_u32_e64 v7, s0, v5, v8, s0
	v_mov_b32_e32 v8, v20
	v_mov_b32_e32 v14, v21
	v_add_co_u32 v21, s0, v0, v11
	v_dual_mov_b32 v16, v18 :: v_dual_add_nc_u32 v11, 0xa2, v9
	v_mad_co_u64_u32 v[17:18], null, s18, v26, 0
	v_mad_co_u64_u32 v[23:24], null, s19, v24, v[8:9]
	s_delay_alu instid0(VALU_DEP_3) | instskip(SKIP_2) | instid1(VALU_DEP_4)
	v_mad_co_u64_u32 v[24:25], null, s18, v11, 0
	s_wait_alu 0xf1ff
	v_add_co_ci_u32_e64 v22, s0, v5, v12, s0
	v_mov_b32_e32 v8, v18
	v_lshlrev_b64_e32 v[12:13], 2, v[13:14]
	v_lshlrev_b64_e32 v[14:15], 2, v[15:16]
	v_add_nc_u32_e32 v16, 0x1b0, v9
	v_dual_mov_b32 v20, v23 :: v_dual_add_nc_u32 v23, 0x2be, v9
	v_mad_co_u64_u32 v[26:27], null, s19, v26, v[8:9]
	v_mov_b32_e32 v8, v25
	s_delay_alu instid0(VALU_DEP_4) | instskip(SKIP_1) | instid1(VALU_DEP_3)
	v_mad_co_u64_u32 v[27:28], null, s18, v16, 0
	v_add_co_u32 v12, s0, v0, v12
	v_mad_co_u64_u32 v[29:30], null, s19, v11, v[8:9]
	v_mad_co_u64_u32 v[30:31], null, s18, v23, 0
	s_delay_alu instid0(VALU_DEP_4)
	v_mov_b32_e32 v8, v28
	v_mov_b32_e32 v18, v26
	v_lshlrev_b64_e32 v[19:20], 2, v[19:20]
	s_wait_alu 0xf1ff
	v_add_co_ci_u32_e64 v13, s0, v5, v13, s0
	v_mov_b32_e32 v25, v29
	v_mad_co_u64_u32 v[28:29], null, s19, v16, v[8:9]
	v_mov_b32_e32 v8, v31
	v_add_co_u32 v14, s0, v0, v14
	v_lshlrev_b64_e32 v[16:17], 2, v[17:18]
	s_wait_alu 0xf1ff
	v_add_co_ci_u32_e64 v15, s0, v5, v15, s0
	v_add_co_u32 v19, s0, v0, v19
	v_mad_co_u64_u32 v[31:32], null, s19, v23, v[8:9]
	v_lshlrev_b64_e32 v[23:24], 2, v[24:25]
	s_wait_alu 0xf1ff
	v_add_co_ci_u32_e64 v20, s0, v5, v20, s0
	v_add_co_u32 v32, s0, v0, v16
	s_wait_alu 0xf1ff
	v_add_co_ci_u32_e64 v33, s0, v5, v17, s0
	v_lshlrev_b64_e32 v[16:17], 2, v[27:28]
	v_add_co_u32 v26, s0, v0, v23
	s_wait_alu 0xf1ff
	v_add_co_ci_u32_e64 v27, s0, v5, v24, s0
	v_lshlrev_b64_e32 v[23:24], 2, v[30:31]
	s_delay_alu instid0(VALU_DEP_4) | instskip(SKIP_2) | instid1(VALU_DEP_3)
	v_add_co_u32 v28, s0, v0, v16
	s_wait_alu 0xf1ff
	v_add_co_ci_u32_e64 v29, s0, v5, v17, s0
	v_add_co_u32 v30, s0, v0, v23
	s_wait_alu 0xf1ff
	v_add_co_ci_u32_e64 v31, s0, v5, v24, s0
	s_clause 0x8
	global_load_b32 v25, v[6:7], off
	global_load_b32 v18, v[21:22], off
	;; [unrolled: 1-line block ×9, first 2 shown]
                                        ; implicit-def: $vgpr26
                                        ; implicit-def: $vgpr12
                                        ; implicit-def: $vgpr19
                                        ; implicit-def: $vgpr21
                                        ; implicit-def: $vgpr22
                                        ; implicit-def: $vgpr23
	v_cmpx_gt_u32_e32 27, v9
	s_cbranch_execz .LBB0_14
; %bb.13:
	v_add_nc_u32_e32 v28, 0x201, v9
	v_add_nc_u32_e32 v29, 0x30f, v9
	s_delay_alu instid0(VALU_DEP_2) | instskip(SKIP_1) | instid1(VALU_DEP_3)
	v_mad_co_u64_u32 v[21:22], null, s18, v28, 0
	v_add_nc_u32_e32 v19, 0xf3, v9
	v_mad_co_u64_u32 v[26:27], null, s18, v29, 0
	s_delay_alu instid0(VALU_DEP_3) | instskip(NEXT) | instid1(VALU_DEP_3)
	v_mov_b32_e32 v8, v22
	v_mad_co_u64_u32 v[6:7], null, s18, v19, 0
	s_delay_alu instid0(VALU_DEP_3) | instskip(NEXT) | instid1(VALU_DEP_2)
	v_mov_b32_e32 v12, v27
	v_mad_co_u64_u32 v[22:23], null, s19, v19, v[7:8]
	s_delay_alu instid0(VALU_DEP_1) | instskip(SKIP_3) | instid1(VALU_DEP_3)
	v_mov_b32_e32 v7, v22
	v_mad_co_u64_u32 v[27:28], null, s19, v28, v[8:9]
	s_wait_loadcnt 0x1
	v_mad_co_u64_u32 v[28:29], null, s19, v29, v[12:13]
	v_lshlrev_b64_e32 v[6:7], 2, v[6:7]
	s_delay_alu instid0(VALU_DEP_2) | instskip(NEXT) | instid1(VALU_DEP_2)
	v_dual_mov_b32 v22, v27 :: v_dual_mov_b32 v27, v28
	v_add_co_u32 v6, s0, v0, v6
	s_delay_alu instid0(VALU_DEP_2) | instskip(SKIP_1) | instid1(VALU_DEP_4)
	v_lshlrev_b64_e32 v[21:22], 2, v[21:22]
	s_wait_alu 0xf1ff
	v_add_co_ci_u32_e64 v7, s0, v5, v7, s0
	v_lshlrev_b64_e32 v[26:27], 2, v[26:27]
	s_delay_alu instid0(VALU_DEP_3) | instskip(SKIP_2) | instid1(VALU_DEP_3)
	v_add_co_u32 v21, s0, v0, v21
	s_wait_alu 0xf1ff
	v_add_co_ci_u32_e64 v22, s0, v5, v22, s0
	v_add_co_u32 v28, s0, v0, v26
	s_wait_alu 0xf1ff
	v_add_co_ci_u32_e64 v29, s0, v5, v27, s0
	s_clause 0x2
	global_load_b32 v26, v[6:7], off
	global_load_b32 v19, v[21:22], off
	;; [unrolled: 1-line block ×3, first 2 shown]
	s_wait_loadcnt 0x2
	v_lshrrev_b32_e32 v12, 16, v26
	s_wait_loadcnt 0x1
	v_lshrrev_b32_e32 v21, 16, v19
	;; [unrolled: 2-line block ×3, first 2 shown]
.LBB0_14:
	s_wait_alu 0xfffe
	s_or_b32 exec_lo, exec_lo, s6
	s_wait_loadcnt 0x8
	v_lshrrev_b32_e32 v29, 16, v25
	s_wait_loadcnt 0x7
	v_lshrrev_b32_e32 v35, 16, v18
	;; [unrolled: 2-line block ×9, first 2 shown]
.LBB0_15:
	s_or_b32 exec_lo, exec_lo, s1
	v_add_f16_e32 v0, v17, v18
	v_add_f16_e32 v5, v18, v25
	v_sub_f16_e32 v6, v35, v33
	v_add_f16_e32 v7, v15, v16
	v_sub_f16_e32 v8, v34, v32
	v_fmac_f16_e32 v25, -0.5, v0
	v_add_f16_e32 v37, v17, v5
	v_add_f16_e32 v5, v14, v13
	;; [unrolled: 1-line block ×3, first 2 shown]
	v_fmac_f16_e32 v24, -0.5, v7
	v_fmamk_f16 v38, v6, 0xbaee, v25
	v_fmac_f16_e32 v25, 0x3aee, v6
	v_add_f16_e32 v6, v22, v19
	v_add_f16_e32 v36, v13, v20
	v_fmac_f16_e32 v20, -0.5, v5
	v_sub_f16_e32 v5, v31, v30
	v_add_f16_e32 v0, v15, v0
	v_fma_f16 v7, -0.5, v6, v26
	v_sub_f16_e32 v6, v21, v23
	v_fmamk_f16 v39, v8, 0xbaee, v24
	v_fmac_f16_e32 v24, 0x3aee, v8
	v_add_f16_e32 v40, v14, v36
	v_fmamk_f16 v41, v5, 0xbaee, v20
	v_mad_u32_u24 v36, v9, 6, 0
	v_fmac_f16_e32 v20, 0x3aee, v5
	v_fmamk_f16 v8, v6, 0xbaee, v7
	v_fmac_f16_e32 v7, 0x3aee, v6
	v_mad_i32_i24 v5, v10, 6, 0
	v_mad_i32_i24 v6, v11, 6, 0
	v_cmp_gt_u32_e64 s0, 27, v9
	ds_store_b16 v36, v37
	ds_store_b16 v36, v38 offset:2
	ds_store_b16 v36, v25 offset:4
	ds_store_b16 v5, v0
	ds_store_b16 v5, v39 offset:2
	ds_store_b16 v5, v24 offset:4
	;; [unrolled: 3-line block ×3, first 2 shown]
	s_and_saveexec_b32 s1, s0
	s_cbranch_execz .LBB0_17
; %bb.16:
	v_add_f16_e32 v0, v19, v26
	s_delay_alu instid0(VALU_DEP_1)
	v_add_f16_e32 v0, v22, v0
	ds_store_b16 v36, v0 offset:1458
	ds_store_b16 v36, v8 offset:1460
	;; [unrolled: 1-line block ×3, first 2 shown]
.LBB0_17:
	s_wait_alu 0xfffe
	s_or_b32 exec_lo, exec_lo, s1
	v_add_f16_e32 v0, v33, v35
	v_add_f16_e32 v20, v35, v29
	v_sub_f16_e32 v17, v18, v17
	v_add_f16_e32 v18, v32, v34
	v_sub_f16_e32 v15, v16, v15
	v_fmac_f16_e32 v29, -0.5, v0
	v_add_f16_e32 v0, v34, v28
	v_add_f16_e32 v16, v30, v31
	v_fmac_f16_e32 v28, -0.5, v18
	v_lshlrev_b32_e32 v38, 2, v11
	v_fmamk_f16 v34, v17, 0x3aee, v29
	v_add_f16_e32 v32, v32, v0
	v_add_f16_e32 v0, v31, v27
	v_lshlrev_b32_e32 v31, 2, v10
	v_fmac_f16_e32 v29, 0xbaee, v17
	v_fmamk_f16 v35, v15, 0x3aee, v28
	v_add_f16_e32 v17, v23, v21
	v_add_f16_e32 v37, v30, v0
	v_lshlrev_b32_e32 v0, 2, v9
	v_fmac_f16_e32 v28, 0xbaee, v15
	v_sub_nc_u32_e32 v15, v5, v31
	v_fmac_f16_e32 v27, -0.5, v16
	v_sub_nc_u32_e32 v16, v6, v38
	v_sub_nc_u32_e32 v0, v36, v0
	v_add_f16_e32 v33, v33, v20
	v_sub_f16_e32 v14, v13, v14
	v_fma_f16 v13, -0.5, v17, v12
	v_sub_f16_e32 v30, v19, v22
	global_wb scope:SCOPE_SE
	s_wait_dscnt 0x0
	s_wait_kmcnt 0x0
	s_barrier_signal -1
	s_barrier_wait -1
	global_inv scope:SCOPE_SE
	ds_load_u16 v26, v15
	ds_load_u16 v24, v16
	;; [unrolled: 1-line block ×3, first 2 shown]
	ds_load_u16 v25, v0 offset:486
	ds_load_u16 v22, v0 offset:648
	;; [unrolled: 1-line block ×7, first 2 shown]
	v_fmamk_f16 v39, v14, 0x3aee, v27
	v_fmac_f16_e32 v27, 0xbaee, v14
	v_fmamk_f16 v14, v30, 0x3aee, v13
	v_fmac_f16_e32 v13, 0xbaee, v30
	v_sub_nc_u32_e32 v30, 0, v31
	v_sub_nc_u32_e32 v31, 0, v38
	global_wb scope:SCOPE_SE
	s_wait_dscnt 0x0
	s_barrier_signal -1
	s_barrier_wait -1
	global_inv scope:SCOPE_SE
	ds_store_b16 v36, v33
	ds_store_b16 v36, v34 offset:2
	ds_store_b16 v36, v29 offset:4
	ds_store_b16 v5, v32
	ds_store_b16 v5, v35 offset:2
	ds_store_b16 v5, v28 offset:4
	;; [unrolled: 3-line block ×3, first 2 shown]
	s_and_saveexec_b32 s1, s0
	s_cbranch_execz .LBB0_19
; %bb.18:
	v_add_f16_e32 v12, v21, v12
	s_delay_alu instid0(VALU_DEP_1)
	v_add_f16_e32 v12, v23, v12
	ds_store_b16 v36, v12 offset:1458
	ds_store_b16 v36, v14 offset:1460
	;; [unrolled: 1-line block ×3, first 2 shown]
.LBB0_19:
	s_wait_alu 0xfffe
	s_or_b32 exec_lo, exec_lo, s1
	v_and_b32_e32 v12, 0xff, v9
	global_wb scope:SCOPE_SE
	s_wait_dscnt 0x0
	s_barrier_signal -1
	s_barrier_wait -1
	global_inv scope:SCOPE_SE
	v_mul_lo_u16 v21, 0xab, v12
	v_add_nc_u32_e32 v5, v5, v30
	v_add_nc_u32_e32 v6, v6, v31
	s_delay_alu instid0(VALU_DEP_3) | instskip(NEXT) | instid1(VALU_DEP_1)
	v_lshrrev_b16 v21, 9, v21
	v_mul_lo_u16 v23, v21, 3
	v_and_b32_e32 v21, 0xffff, v21
	s_delay_alu instid0(VALU_DEP_2) | instskip(NEXT) | instid1(VALU_DEP_2)
	v_sub_nc_u16 v23, v9, v23
	v_mul_u32_u24_e32 v21, 60, v21
	s_delay_alu instid0(VALU_DEP_2) | instskip(NEXT) | instid1(VALU_DEP_1)
	v_and_b32_e32 v23, 0xff, v23
	v_mul_u32_u24_e32 v27, 9, v23
	v_lshlrev_b32_e32 v30, 1, v23
	s_delay_alu instid0(VALU_DEP_2) | instskip(NEXT) | instid1(VALU_DEP_2)
	v_lshlrev_b32_e32 v27, 2, v27
	v_add3_u32 v21, 0, v21, v30
	s_clause 0x2
	global_load_b128 v[45:48], v27, s[4:5]
	global_load_b128 v[49:52], v27, s[4:5] offset:16
	global_load_b32 v27, v27, s[4:5] offset:32
	ds_load_u16 v28, v5
	ds_load_u16 v29, v6
	;; [unrolled: 1-line block ×3, first 2 shown]
	ds_load_u16 v33, v0 offset:486
	ds_load_u16 v37, v0 offset:648
	;; [unrolled: 1-line block ×7, first 2 shown]
	global_wb scope:SCOPE_SE
	s_wait_loadcnt_dscnt 0x0
	s_barrier_signal -1
	s_barrier_wait -1
	global_inv scope:SCOPE_SE
	v_lshrrev_b32_e32 v32, 16, v46
	v_lshrrev_b32_e32 v34, 16, v47
	;; [unrolled: 1-line block ×9, first 2 shown]
	v_mul_f16_e32 v40, v29, v32
	v_mul_f16_e32 v57, v33, v34
	;; [unrolled: 1-line block ×17, first 2 shown]
	v_fmac_f16_e32 v40, v24, v46
	v_fmac_f16_e32 v34, v22, v48
	;; [unrolled: 1-line block ×3, first 2 shown]
	v_fma_f16 v24, v38, v49, -v61
	v_fmac_f16_e32 v63, v18, v51
	v_fma_f16 v22, v41, v51, -v53
	v_mul_f16_e32 v54, v17, v54
	v_fmac_f16_e32 v57, v25, v47
	v_fma_f16 v33, v33, v47, -v58
	v_fmac_f16_e32 v36, v19, v50
	v_fmac_f16_e32 v44, v17, v52
	;; [unrolled: 1-line block ×3, first 2 shown]
	v_fma_f16 v16, v43, v27, -v55
	v_fmac_f16_e32 v31, v26, v45
	v_fma_f16 v32, v28, v45, -v30
	v_fma_f16 v38, v39, v50, -v62
	v_add_f16_e32 v17, v15, v40
	v_add_f16_e32 v41, v60, v63
	;; [unrolled: 1-line block ×3, first 2 shown]
	v_fma_f16 v35, v29, v46, -v56
	v_fma_f16 v39, v42, v52, -v54
	v_sub_f16_e32 v25, v40, v34
	v_sub_f16_e32 v26, v44, v36
	;; [unrolled: 1-line block ×6, first 2 shown]
	v_add_f16_e32 v55, v33, v16
	v_sub_f16_e32 v46, v60, v57
	v_sub_f16_e32 v47, v63, v64
	;; [unrolled: 1-line block ×3, first 2 shown]
	v_add_f16_e32 v58, v17, v34
	v_fma_f16 v17, -0.5, v41, v31
	v_fma_f16 v41, -0.5, v50, v32
	v_add_f16_e32 v18, v34, v36
	v_add_f16_e32 v45, v57, v64
	v_sub_f16_e32 v52, v60, v63
	v_add_f16_e32 v25, v25, v26
	v_add_f16_e32 v26, v28, v29
	;; [unrolled: 1-line block ×3, first 2 shown]
	v_fma_f16 v42, -0.5, v55, v32
	v_fma_f16 v37, v37, v48, -v59
	v_add_f16_e32 v27, v40, v44
	v_add_f16_e32 v30, v31, v57
	v_sub_f16_e32 v48, v33, v16
	v_sub_f16_e32 v53, v33, v24
	;; [unrolled: 1-line block ×3, first 2 shown]
	v_add_f16_e32 v29, v46, v47
	v_fmamk_f16 v47, v51, 0x3b9c, v41
	v_sub_f16_e32 v19, v35, v39
	v_sub_f16_e32 v49, v24, v22
	v_sub_f16_e32 v56, v24, v33
	v_sub_f16_e32 v57, v22, v16
	v_fma_f16 v18, -0.5, v18, v15
	v_fmac_f16_e32 v31, -0.5, v45
	v_fmamk_f16 v46, v52, 0xbb9c, v42
	v_sub_f16_e32 v20, v37, v38
	v_fmac_f16_e32 v15, -0.5, v27
	v_fmac_f16_e32 v42, 0x3b9c, v52
	v_fmac_f16_e32 v41, 0xbb9c, v51
	v_add_f16_e32 v27, v30, v60
	v_add_f16_e32 v30, v53, v54
	v_fmamk_f16 v43, v48, 0xbb9c, v17
	v_fmac_f16_e32 v47, 0x38b4, v52
	v_add_f16_e32 v50, v56, v57
	v_fmamk_f16 v54, v19, 0xbb9c, v18
	v_fmac_f16_e32 v18, 0x3b9c, v19
	v_fmamk_f16 v45, v49, 0x3b9c, v31
	v_fmac_f16_e32 v46, 0x38b4, v51
	;; [unrolled: 2-line block ×3, first 2 shown]
	v_fmac_f16_e32 v31, 0xbb9c, v49
	v_fmac_f16_e32 v42, 0xb8b4, v51
	;; [unrolled: 1-line block ×14, first 2 shown]
	v_add_f16_e32 v27, v27, v63
	v_fmac_f16_e32 v17, 0x38b4, v49
	v_fmac_f16_e32 v41, 0x34f2, v30
	v_add_f16_e32 v53, v58, v36
	v_fmac_f16_e32 v43, 0x34f2, v28
	v_mul_f16_e32 v20, 0xb8b4, v47
	v_fmac_f16_e32 v54, 0x34f2, v25
	v_fmac_f16_e32 v18, 0x34f2, v25
	;; [unrolled: 1-line block ×3, first 2 shown]
	v_mul_f16_e32 v25, 0xbb9c, v46
	v_fmac_f16_e32 v55, 0x34f2, v26
	v_fmac_f16_e32 v15, 0x34f2, v26
	;; [unrolled: 1-line block ×3, first 2 shown]
	v_mul_f16_e32 v26, 0xbb9c, v42
	v_add_f16_e32 v19, v27, v64
	v_fmac_f16_e32 v17, 0x34f2, v28
	v_mul_f16_e32 v27, 0xb8b4, v41
	v_add_f16_e32 v53, v53, v44
	v_fmac_f16_e32 v20, 0x3a79, v43
	v_fmac_f16_e32 v25, 0x34f2, v45
	;; [unrolled: 1-line block ×4, first 2 shown]
	v_add_f16_e32 v28, v53, v19
	v_add_f16_e32 v29, v54, v20
	;; [unrolled: 1-line block ×4, first 2 shown]
	v_sub_f16_e32 v19, v53, v19
	v_add_f16_e32 v49, v18, v27
	v_sub_f16_e32 v20, v54, v20
	v_sub_f16_e32 v25, v55, v25
	v_sub_f16_e32 v26, v15, v26
	v_sub_f16_e32 v15, v18, v27
	ds_store_b16 v21, v28
	ds_store_b16 v21, v29 offset:6
	ds_store_b16 v21, v30 offset:12
	;; [unrolled: 1-line block ×9, first 2 shown]
	global_wb scope:SCOPE_SE
	s_wait_dscnt 0x0
	s_barrier_signal -1
	s_barrier_wait -1
	global_inv scope:SCOPE_SE
	ds_load_u16 v19, v0
	ds_load_u16 v29, v0 offset:540
	ds_load_u16 v27, v0 offset:702
	;; [unrolled: 1-line block ×3, first 2 shown]
	ds_load_u16 v18, v6
	ds_load_u16 v20, v5
	ds_load_u16 v26, v0 offset:1404
	ds_load_u16 v30, v0 offset:1080
	;; [unrolled: 1-line block ×3, first 2 shown]
	s_and_saveexec_b32 s1, s0
	s_cbranch_execz .LBB0_21
; %bb.20:
	ds_load_u16 v15, v0 offset:486
	ds_load_u16 v8, v0 offset:1026
	;; [unrolled: 1-line block ×3, first 2 shown]
.LBB0_21:
	s_wait_alu 0xfffe
	s_or_b32 exec_lo, exec_lo, s1
	v_add_f16_e32 v49, v37, v38
	v_add_f16_e32 v50, v35, v39
	;; [unrolled: 1-line block ×3, first 2 shown]
	v_sub_f16_e32 v34, v34, v36
	v_add_f16_e32 v32, v32, v33
	v_fma_f16 v49, -0.5, v49, v23
	v_fmac_f16_e32 v23, -0.5, v50
	v_sub_f16_e32 v40, v40, v44
	v_add_f16_e32 v48, v48, v37
	v_sub_f16_e32 v44, v35, v37
	v_sub_f16_e32 v35, v37, v35
	v_fmamk_f16 v50, v34, 0xbb9c, v23
	v_sub_f16_e32 v37, v38, v39
	v_fmac_f16_e32 v23, 0x3b9c, v34
	v_add_f16_e32 v24, v32, v24
	v_sub_f16_e32 v51, v39, v38
	v_add_f16_e32 v36, v48, v38
	v_fmamk_f16 v48, v40, 0x3b9c, v49
	v_fmac_f16_e32 v50, 0x38b4, v40
	v_add_f16_e32 v33, v35, v37
	v_fmac_f16_e32 v23, 0xb8b4, v40
	v_fmac_f16_e32 v49, 0xbb9c, v40
	v_add_f16_e32 v22, v24, v22
	v_add_f16_e32 v44, v44, v51
	v_fmac_f16_e32 v48, 0x38b4, v34
	v_mul_f16_e32 v24, 0x3a79, v47
	v_mul_f16_e32 v32, 0x34f2, v46
	v_fmac_f16_e32 v50, 0x34f2, v33
	v_fmac_f16_e32 v23, 0x34f2, v33
	v_mul_f16_e32 v33, 0x34f2, v42
	v_fmac_f16_e32 v49, 0xb8b4, v34
	v_mul_f16_e32 v34, 0x3a79, v41
	v_add_f16_e32 v36, v36, v39
	v_add_f16_e32 v16, v22, v16
	v_fmac_f16_e32 v48, 0x34f2, v44
	v_fmac_f16_e32 v24, 0x38b4, v43
	;; [unrolled: 1-line block ×3, first 2 shown]
	v_fma_f16 v22, v31, 0x3b9c, -v33
	v_fmac_f16_e32 v49, 0x34f2, v44
	v_fma_f16 v17, v17, 0x38b4, -v34
	v_add_f16_e32 v31, v36, v16
	v_add_f16_e32 v33, v48, v24
	;; [unrolled: 1-line block ×5, first 2 shown]
	v_sub_f16_e32 v36, v36, v16
	v_sub_f16_e32 v24, v48, v24
	v_sub_f16_e32 v32, v50, v32
	v_sub_f16_e32 v22, v23, v22
	v_sub_f16_e32 v16, v49, v17
	global_wb scope:SCOPE_SE
	s_wait_dscnt 0x0
	s_barrier_signal -1
	s_barrier_wait -1
	global_inv scope:SCOPE_SE
	ds_store_b16 v21, v31
	ds_store_b16 v21, v33 offset:6
	ds_store_b16 v21, v34 offset:12
	;; [unrolled: 1-line block ×9, first 2 shown]
	global_wb scope:SCOPE_SE
	s_wait_dscnt 0x0
	s_barrier_signal -1
	s_barrier_wait -1
	global_inv scope:SCOPE_SE
	ds_load_u16 v22, v0
	ds_load_u16 v35, v0 offset:540
	ds_load_u16 v33, v0 offset:702
	;; [unrolled: 1-line block ×3, first 2 shown]
	ds_load_u16 v23, v6
	ds_load_u16 v24, v5
	ds_load_u16 v32, v0 offset:1404
	ds_load_u16 v36, v0 offset:1080
	;; [unrolled: 1-line block ×3, first 2 shown]
	s_and_saveexec_b32 s1, s0
	s_cbranch_execz .LBB0_23
; %bb.22:
	ds_load_u16 v16, v0 offset:486
	ds_load_u16 v14, v0 offset:1026
	;; [unrolled: 1-line block ×3, first 2 shown]
.LBB0_23:
	s_wait_alu 0xfffe
	s_or_b32 exec_lo, exec_lo, s1
	v_mul_lo_u16 v12, 0x89, v12
	v_and_b32_e32 v21, 0xff, v10
	v_and_b32_e32 v17, 0xff, v11
	s_delay_alu instid0(VALU_DEP_3) | instskip(NEXT) | instid1(VALU_DEP_3)
	v_lshrrev_b16 v37, 12, v12
	v_mul_lo_u16 v21, 0x89, v21
	v_add_nc_u32_e32 v12, 0xf3, v9
	s_delay_alu instid0(VALU_DEP_4) | instskip(NEXT) | instid1(VALU_DEP_4)
	v_mul_lo_u16 v39, 0x89, v17
	v_mul_lo_u16 v38, v37, 30
	s_delay_alu instid0(VALU_DEP_4) | instskip(NEXT) | instid1(VALU_DEP_4)
	v_lshrrev_b16 v40, 12, v21
	v_and_b32_e32 v21, 0xffff, v12
	s_delay_alu instid0(VALU_DEP_4)
	v_lshrrev_b16 v39, 12, v39
	v_and_b32_e32 v37, 0xffff, v37
	v_sub_nc_u16 v38, v9, v38
	v_mul_lo_u16 v41, v40, 30
	v_mul_u32_u24_e32 v43, 0x8889, v21
	v_mul_lo_u16 v42, v39, 30
	v_and_b32_e32 v39, 0xffff, v39
	v_and_b32_e32 v38, 0xff, v38
	v_sub_nc_u16 v41, v10, v41
	v_lshrrev_b32_e32 v43, 20, v43
	v_sub_nc_u16 v45, v11, v42
	v_and_b32_e32 v40, 0xffff, v40
	v_lshlrev_b32_e32 v44, 3, v38
	v_and_b32_e32 v46, 0xff, v41
	v_mul_lo_u16 v43, v43, 30
	v_mul_u32_u24_e32 v37, 0xb4, v37
	v_lshlrev_b32_e32 v38, 1, v38
	global_load_b64 v[41:42], v44, s[4:5] offset:108
	v_and_b32_e32 v44, 0xff, v45
	v_sub_nc_u16 v43, v12, v43
	v_lshlrev_b32_e32 v45, 3, v46
	s_delay_alu instid0(VALU_DEP_3) | instskip(NEXT) | instid1(VALU_DEP_3)
	v_lshlrev_b32_e32 v47, 3, v44
	v_and_b32_e32 v43, 0xffff, v43
	global_load_b64 v[49:50], v45, s[4:5] offset:108
	v_lshlrev_b32_e32 v44, 1, v44
	global_load_b64 v[51:52], v47, s[4:5] offset:108
	v_lshlrev_b32_e32 v45, 3, v43
	v_mul_u32_u24_e32 v47, 0xb4, v39
	v_lshlrev_b32_e32 v39, 1, v46
	global_load_b64 v[53:54], v45, s[4:5] offset:108
	v_mul_u32_u24_e32 v45, 0xb4, v40
	v_add3_u32 v40, 0, v37, v38
	v_add3_u32 v38, 0, v47, v44
	v_lshl_add_u32 v37, v43, 1, 0
	global_wb scope:SCOPE_SE
	s_wait_loadcnt_dscnt 0x0
	v_add3_u32 v39, 0, v45, v39
	s_barrier_signal -1
	s_barrier_wait -1
	global_inv scope:SCOPE_SE
	v_lshrrev_b32_e32 v44, 16, v41
	v_lshrrev_b32_e32 v46, 16, v42
	s_delay_alu instid0(VALU_DEP_2) | instskip(SKIP_1) | instid1(VALU_DEP_3)
	v_mul_f16_e32 v43, v35, v44
	v_mul_f16_e32 v44, v29, v44
	;; [unrolled: 1-line block ×4, first 2 shown]
	v_lshrrev_b32_e32 v47, 16, v49
	v_lshrrev_b32_e32 v55, 16, v50
	;; [unrolled: 1-line block ×4, first 2 shown]
	v_fmac_f16_e32 v43, v29, v41
	v_fma_f16 v48, v35, v41, -v44
	v_fmac_f16_e32 v45, v30, v42
	v_fma_f16 v42, v36, v42, -v46
	v_mul_f16_e32 v44, v33, v47
	v_mul_f16_e32 v35, v27, v47
	;; [unrolled: 1-line block ×8, first 2 shown]
	v_lshrrev_b32_e32 v56, 16, v53
	v_lshrrev_b32_e32 v57, 16, v54
	v_fmac_f16_e32 v44, v27, v49
	v_fma_f16 v49, v33, v49, -v35
	v_fmac_f16_e32 v46, v25, v50
	v_fma_f16 v47, v31, v50, -v36
	v_mul_f16_e32 v35, v14, v56
	v_mul_f16_e32 v25, v8, v56
	;; [unrolled: 1-line block ×3, first 2 shown]
	v_fmac_f16_e32 v29, v28, v51
	v_fmac_f16_e32 v30, v26, v52
	v_mul_f16_e32 v26, v7, v57
	v_add_f16_e32 v31, v43, v45
	v_fmac_f16_e32 v35, v8, v53
	v_fma_f16 v8, v14, v53, -v25
	v_fmac_f16_e32 v36, v7, v54
	v_add_f16_e32 v25, v44, v46
	v_fma_f16 v28, v32, v52, -v55
	v_add_f16_e32 v27, v19, v43
	v_sub_f16_e32 v32, v48, v42
	v_fma_f16 v7, v13, v54, -v26
	v_fmac_f16_e32 v19, -0.5, v31
	v_add_f16_e32 v13, v20, v44
	v_add_f16_e32 v31, v29, v30
	v_fmac_f16_e32 v20, -0.5, v25
	v_add_f16_e32 v25, v35, v36
	v_fma_f16 v41, v34, v51, -v41
	v_add_f16_e32 v14, v27, v45
	v_add_f16_e32 v27, v18, v29
	v_fmamk_f16 v34, v32, 0xbaee, v19
	v_fmac_f16_e32 v19, 0x3aee, v32
	v_add_f16_e32 v32, v13, v46
	v_fmac_f16_e32 v18, -0.5, v31
	v_add_f16_e32 v13, v15, v35
	v_sub_f16_e32 v31, v8, v7
	v_fmac_f16_e32 v15, -0.5, v25
	v_sub_f16_e32 v26, v49, v47
	v_sub_f16_e32 v33, v41, v28
	v_add_f16_e32 v13, v13, v36
	v_add_f16_e32 v27, v27, v30
	v_fmamk_f16 v25, v31, 0xbaee, v15
	v_fmac_f16_e32 v15, 0x3aee, v31
	v_fmamk_f16 v50, v26, 0xbaee, v20
	v_fmac_f16_e32 v20, 0x3aee, v26
	;; [unrolled: 2-line block ×3, first 2 shown]
	ds_store_b16 v40, v14
	ds_store_b16 v40, v34 offset:60
	ds_store_b16 v40, v19 offset:120
	ds_store_b16 v39, v32
	ds_store_b16 v39, v50 offset:60
	ds_store_b16 v39, v20 offset:120
	;; [unrolled: 3-line block ×3, first 2 shown]
	s_and_saveexec_b32 s1, s0
	s_cbranch_execz .LBB0_25
; %bb.24:
	ds_store_b16 v37, v13 offset:1440
	ds_store_b16 v37, v25 offset:1500
	;; [unrolled: 1-line block ×3, first 2 shown]
.LBB0_25:
	s_wait_alu 0xfffe
	s_or_b32 exec_lo, exec_lo, s1
	global_wb scope:SCOPE_SE
	s_wait_dscnt 0x0
	s_barrier_signal -1
	s_barrier_wait -1
	global_inv scope:SCOPE_SE
	ds_load_u16 v20, v0
	ds_load_u16 v33, v0 offset:540
	ds_load_u16 v31, v0 offset:702
	;; [unrolled: 1-line block ×3, first 2 shown]
	ds_load_u16 v18, v6
	ds_load_u16 v19, v5
	ds_load_u16 v26, v0 offset:1404
	ds_load_u16 v34, v0 offset:1080
	;; [unrolled: 1-line block ×3, first 2 shown]
	s_and_saveexec_b32 s1, s0
	s_cbranch_execz .LBB0_27
; %bb.26:
	ds_load_u16 v13, v0 offset:486
	ds_load_u16 v25, v0 offset:1026
	;; [unrolled: 1-line block ×3, first 2 shown]
.LBB0_27:
	s_wait_alu 0xfffe
	s_or_b32 exec_lo, exec_lo, s1
	v_add_f16_e32 v14, v48, v42
	v_sub_f16_e32 v43, v43, v45
	v_add_f16_e32 v45, v49, v47
	v_add_f16_e32 v48, v22, v48
	v_sub_f16_e32 v44, v44, v46
	v_fmac_f16_e32 v22, -0.5, v14
	v_add_f16_e32 v14, v24, v49
	v_fmac_f16_e32 v24, -0.5, v45
	v_add_f16_e32 v42, v48, v42
	global_wb scope:SCOPE_SE
	s_wait_dscnt 0x0
	v_fmamk_f16 v45, v43, 0x3aee, v22
	v_fmac_f16_e32 v22, 0xbaee, v43
	v_add_f16_e32 v43, v14, v47
	v_add_f16_e32 v14, v41, v28
	v_fmamk_f16 v46, v44, 0x3aee, v24
	v_fmac_f16_e32 v24, 0xbaee, v44
	v_add_f16_e32 v44, v8, v7
	v_add_f16_e32 v41, v23, v41
	v_fmac_f16_e32 v23, -0.5, v14
	v_sub_f16_e32 v14, v29, v30
	v_add_f16_e32 v8, v16, v8
	v_fmac_f16_e32 v16, -0.5, v44
	v_sub_f16_e32 v29, v35, v36
	v_add_f16_e32 v28, v41, v28
	v_fmamk_f16 v30, v14, 0x3aee, v23
	v_fmac_f16_e32 v23, 0xbaee, v14
	v_add_f16_e32 v14, v8, v7
	v_fmamk_f16 v35, v29, 0x3aee, v16
	v_fmac_f16_e32 v16, 0xbaee, v29
	s_barrier_signal -1
	s_barrier_wait -1
	global_inv scope:SCOPE_SE
	ds_store_b16 v40, v42
	ds_store_b16 v40, v45 offset:60
	ds_store_b16 v40, v22 offset:120
	ds_store_b16 v39, v43
	ds_store_b16 v39, v46 offset:60
	ds_store_b16 v39, v24 offset:120
	;; [unrolled: 3-line block ×3, first 2 shown]
	s_and_saveexec_b32 s1, s0
	s_cbranch_execz .LBB0_29
; %bb.28:
	ds_store_b16 v37, v14 offset:1440
	ds_store_b16 v37, v35 offset:1500
	;; [unrolled: 1-line block ×3, first 2 shown]
.LBB0_29:
	s_wait_alu 0xfffe
	s_or_b32 exec_lo, exec_lo, s1
	global_wb scope:SCOPE_SE
	s_wait_dscnt 0x0
	s_barrier_signal -1
	s_barrier_wait -1
	global_inv scope:SCOPE_SE
	ds_load_u16 v28, v0
	ds_load_u16 v38, v0 offset:540
	ds_load_u16 v24, v0 offset:702
	;; [unrolled: 1-line block ×3, first 2 shown]
	ds_load_u16 v29, v6
	ds_load_u16 v30, v5
	ds_load_u16 v22, v0 offset:1404
	ds_load_u16 v40, v0 offset:1080
	;; [unrolled: 1-line block ×3, first 2 shown]
	s_and_saveexec_b32 s1, s0
	s_cbranch_execz .LBB0_31
; %bb.30:
	ds_load_u16 v14, v0 offset:486
	ds_load_u16 v35, v0 offset:1026
	;; [unrolled: 1-line block ×3, first 2 shown]
.LBB0_31:
	s_wait_alu 0xfffe
	s_or_b32 exec_lo, exec_lo, s1
	v_mul_lo_u16 v17, 0xb7, v17
	v_dual_mov_b32 v42, 0 :: v_dual_lshlrev_b32 v41, 1, v9
	v_add_nc_u32_e32 v37, -9, v9
	v_mul_u32_u24_e32 v21, 0x2d83, v21
	v_cmp_gt_u32_e64 s1, 9, v9
	v_lshrrev_b16 v17, 14, v17
	v_lshlrev_b64_e32 v[7:8], 2, v[41:42]
	s_delay_alu instid0(VALU_DEP_4)
	v_lshrrev_b32_e32 v21, 20, v21
	s_wait_alu 0xf1ff
	v_cndmask_b32_e64 v37, v37, v10, s1
	v_mul_lo_u16 v39, 0x5a, v17
	v_and_b32_e32 v17, 0xffff, v17
	v_add_co_u32 v7, s1, s4, v7
	v_mul_lo_u16 v21, 0x5a, v21
	v_lshlrev_b32_e32 v41, 1, v37
	s_wait_alu 0xf1ff
	v_add_co_ci_u32_e64 v8, s1, s5, v8, s1
	v_sub_nc_u16 v37, v11, v39
	v_sub_nc_u16 v21, v12, v21
	v_lshlrev_b64_e32 v[42:43], 2, v[41:42]
	global_load_b64 v[44:45], v[7:8], off offset:348
	v_mul_u32_u24_e32 v17, 0x21c, v17
	v_and_b32_e32 v37, 0xff, v37
	v_and_b32_e32 v21, 0xffff, v21
	v_add_co_u32 v42, s1, s4, v42
	s_wait_alu 0xf1ff
	v_add_co_ci_u32_e64 v43, s1, s5, v43, s1
	v_lshlrev_b32_e32 v39, 3, v37
	v_lshlrev_b32_e32 v46, 3, v21
	s_clause 0x2
	global_load_b64 v[48:49], v[42:43], off offset:348
	global_load_b64 v[50:51], v39, s[4:5] offset:348
	global_load_b64 v[52:53], v46, s[4:5] offset:348
	v_cmp_lt_u32_e64 s1, 8, v9
	global_wb scope:SCOPE_SE
	s_wait_loadcnt_dscnt 0x0
	s_barrier_signal -1
	s_barrier_wait -1
	global_inv scope:SCOPE_SE
	s_wait_alu 0xf1ff
	v_cndmask_b32_e64 v39, 0, 0x21c, s1
	s_delay_alu instid0(VALU_DEP_1) | instskip(SKIP_2) | instid1(VALU_DEP_2)
	v_add3_u32 v39, 0, v39, v41
	v_lshlrev_b32_e32 v41, 1, v37
	v_lshl_add_u32 v37, v21, 1, 0
	v_add3_u32 v41, 0, v17, v41
	v_lshrrev_b32_e32 v21, 16, v44
	v_lshrrev_b32_e32 v46, 16, v45
	s_delay_alu instid0(VALU_DEP_2) | instskip(SKIP_1) | instid1(VALU_DEP_3)
	v_mul_f16_e32 v42, v38, v21
	v_mul_f16_e32 v21, v33, v21
	;; [unrolled: 1-line block ×4, first 2 shown]
	s_delay_alu instid0(VALU_DEP_4) | instskip(NEXT) | instid1(VALU_DEP_4)
	v_fmac_f16_e32 v42, v33, v44
	v_fma_f16 v46, v38, v44, -v21
	s_delay_alu instid0(VALU_DEP_4)
	v_fma_f16 v40, v40, v45, -v47
	v_lshrrev_b32_e32 v17, 16, v48
	v_lshrrev_b32_e32 v33, 16, v50
	;; [unrolled: 1-line block ×6, first 2 shown]
	v_fmac_f16_e32 v43, v34, v45
	v_mul_f16_e32 v44, v24, v17
	v_mul_f16_e32 v55, v31, v17
	;; [unrolled: 1-line block ×12, first 2 shown]
	v_fmac_f16_e32 v33, v25, v52
	v_fmac_f16_e32 v38, v15, v53
	v_add_f16_e32 v57, v42, v43
	v_fmac_f16_e32 v44, v31, v48
	v_fmac_f16_e32 v45, v27, v49
	;; [unrolled: 1-line block ×4, first 2 shown]
	v_add_f16_e32 v56, v20, v42
	v_fma_f16 v47, v23, v49, -v21
	v_fma_f16 v35, v35, v52, -v61
	;; [unrolled: 1-line block ×3, first 2 shown]
	v_add_f16_e32 v49, v33, v38
	v_sub_f16_e32 v58, v46, v40
	v_fma_f16 v48, v24, v48, -v55
	v_fmac_f16_e32 v20, -0.5, v57
	v_fma_f16 v31, v22, v51, -v60
	v_add_f16_e32 v22, v44, v45
	v_fma_f16 v36, v36, v50, -v59
	v_add_f16_e32 v25, v17, v34
	v_add_f16_e32 v21, v56, v43
	;; [unrolled: 1-line block ×4, first 2 shown]
	v_sub_f16_e32 v50, v35, v32
	v_fmac_f16_e32 v13, -0.5, v49
	v_fmamk_f16 v15, v58, 0xbaee, v20
	v_sub_f16_e32 v23, v48, v47
	v_fmac_f16_e32 v19, -0.5, v22
	v_fmac_f16_e32 v20, 0x3aee, v58
	v_add_f16_e32 v24, v18, v17
	v_sub_f16_e32 v26, v36, v31
	v_fmac_f16_e32 v18, -0.5, v25
	v_add_f16_e32 v51, v16, v45
	ds_store_b16 v0, v21
	ds_store_b16 v0, v15 offset:180
	ds_store_b16 v0, v20 offset:360
	v_add_f16_e32 v15, v27, v38
	v_fmamk_f16 v16, v50, 0xbaee, v13
	v_fmac_f16_e32 v13, 0x3aee, v50
	v_fmamk_f16 v21, v23, 0xbaee, v19
	v_fmac_f16_e32 v19, 0x3aee, v23
	v_add_f16_e32 v20, v24, v34
	v_fmamk_f16 v22, v26, 0xbaee, v18
	v_fmac_f16_e32 v18, 0x3aee, v26
	ds_store_b16 v39, v51
	ds_store_b16 v39, v21 offset:180
	ds_store_b16 v39, v19 offset:360
	ds_store_b16 v41, v20
	ds_store_b16 v41, v22 offset:180
	ds_store_b16 v41, v18 offset:360
	s_and_saveexec_b32 s1, s0
	s_cbranch_execz .LBB0_33
; %bb.32:
	ds_store_b16 v37, v15 offset:1080
	ds_store_b16 v37, v16 offset:1260
	;; [unrolled: 1-line block ×3, first 2 shown]
.LBB0_33:
	s_wait_alu 0xfffe
	s_or_b32 exec_lo, exec_lo, s1
	global_wb scope:SCOPE_SE
	s_wait_dscnt 0x0
	s_barrier_signal -1
	s_barrier_wait -1
	global_inv scope:SCOPE_SE
	ds_load_u16 v19, v0
	ds_load_u16 v21, v0 offset:540
	ds_load_u16 v23, v0 offset:702
	;; [unrolled: 1-line block ×3, first 2 shown]
	ds_load_u16 v22, v6
	ds_load_u16 v20, v5
	ds_load_u16 v26, v0 offset:1404
	ds_load_u16 v25, v0 offset:1080
	;; [unrolled: 1-line block ×3, first 2 shown]
	s_and_saveexec_b32 s1, s0
	s_cbranch_execz .LBB0_35
; %bb.34:
	ds_load_u16 v15, v0 offset:486
	ds_load_u16 v16, v0 offset:1026
	;; [unrolled: 1-line block ×3, first 2 shown]
.LBB0_35:
	s_wait_alu 0xfffe
	s_or_b32 exec_lo, exec_lo, s1
	v_add_f16_e32 v18, v46, v40
	v_sub_f16_e32 v42, v42, v43
	v_add_f16_e32 v43, v48, v47
	v_add_f16_e32 v46, v28, v46
	v_sub_f16_e32 v44, v44, v45
	v_fmac_f16_e32 v28, -0.5, v18
	v_add_f16_e32 v18, v30, v48
	v_fmac_f16_e32 v30, -0.5, v43
	v_sub_f16_e32 v17, v17, v34
	v_sub_f16_e32 v33, v33, v38
	v_fmamk_f16 v43, v42, 0x3aee, v28
	v_fmac_f16_e32 v28, 0xbaee, v42
	v_add_f16_e32 v42, v18, v47
	v_add_f16_e32 v18, v36, v31
	v_fmamk_f16 v45, v44, 0x3aee, v30
	v_fmac_f16_e32 v30, 0xbaee, v44
	v_add_f16_e32 v44, v35, v32
	v_add_f16_e32 v36, v29, v36
	v_fmac_f16_e32 v29, -0.5, v18
	v_add_f16_e32 v18, v14, v35
	v_add_f16_e32 v40, v46, v40
	v_fmac_f16_e32 v14, -0.5, v44
	v_add_f16_e32 v31, v36, v31
	v_fmamk_f16 v34, v17, 0x3aee, v29
	v_fmac_f16_e32 v29, 0xbaee, v17
	v_add_f16_e32 v17, v18, v32
	v_fmamk_f16 v18, v33, 0x3aee, v14
	v_fmac_f16_e32 v14, 0xbaee, v33
	global_wb scope:SCOPE_SE
	s_wait_dscnt 0x0
	s_barrier_signal -1
	s_barrier_wait -1
	global_inv scope:SCOPE_SE
	ds_store_b16 v0, v40
	ds_store_b16 v0, v43 offset:180
	ds_store_b16 v0, v28 offset:360
	ds_store_b16 v39, v42
	ds_store_b16 v39, v45 offset:180
	ds_store_b16 v39, v30 offset:360
	;; [unrolled: 3-line block ×3, first 2 shown]
	s_and_saveexec_b32 s1, s0
	s_cbranch_execz .LBB0_37
; %bb.36:
	ds_store_b16 v37, v17 offset:1080
	ds_store_b16 v37, v18 offset:1260
	;; [unrolled: 1-line block ×3, first 2 shown]
.LBB0_37:
	s_wait_alu 0xfffe
	s_or_b32 exec_lo, exec_lo, s1
	global_wb scope:SCOPE_SE
	s_wait_dscnt 0x0
	s_barrier_signal -1
	s_barrier_wait -1
	global_inv scope:SCOPE_SE
	ds_load_u16 v28, v0
	ds_load_u16 v30, v0 offset:540
	ds_load_u16 v32, v0 offset:702
	;; [unrolled: 1-line block ×3, first 2 shown]
	ds_load_u16 v31, v6
	ds_load_u16 v29, v5
	ds_load_u16 v35, v0 offset:1404
	ds_load_u16 v34, v0 offset:1080
	;; [unrolled: 1-line block ×3, first 2 shown]
	s_and_saveexec_b32 s1, s0
	s_cbranch_execz .LBB0_39
; %bb.38:
	ds_load_u16 v17, v0 offset:486
	ds_load_u16 v18, v0 offset:1026
	;; [unrolled: 1-line block ×3, first 2 shown]
.LBB0_39:
	s_wait_alu 0xfffe
	s_or_b32 exec_lo, exec_lo, s1
	s_and_saveexec_b32 s1, vcc_lo
	s_cbranch_execz .LBB0_42
; %bb.40:
	v_dual_mov_b32 v6, 0 :: v_dual_lshlrev_b32 v5, 1, v11
	v_add_nc_u32_e32 v41, 0xa2, v9
	v_mul_hi_u32 v0, 0xf2b9d649, v9
	v_add_nc_u32_e32 v40, 0x51, v9
	v_mul_lo_u32 v39, s2, v4
	v_lshlrev_b64_e32 v[37:38], 2, v[5:6]
	v_lshlrev_b32_e32 v5, 1, v10
	v_mul_hi_u32 v43, 0xf2b9d649, v41
	v_mul_hi_u32 v42, 0xf2b9d649, v40
	v_lshrrev_b32_e32 v44, 8, v0
	v_add_co_u32 v10, vcc_lo, s4, v37
	s_wait_alu 0xfffd
	v_add_co_ci_u32_e32 v11, vcc_lo, s5, v38, vcc_lo
	v_lshlrev_b64_e32 v[37:38], 2, v[5:6]
	v_mul_lo_u32 v5, s3, v3
	v_mad_co_u64_u32 v[3:4], null, s2, v3, 0
	global_load_b64 v[10:11], v[10:11], off offset:1068
	v_lshrrev_b32_e32 v43, 8, v43
	v_add_co_u32 v37, vcc_lo, s4, v37
	s_wait_alu 0xfffd
	v_add_co_ci_u32_e32 v38, vcc_lo, s5, v38, vcc_lo
	s_clause 0x1
	global_load_b64 v[37:38], v[37:38], off offset:1068
	global_load_b64 v[7:8], v[7:8], off offset:1068
	v_add3_u32 v4, v4, v39, v5
	v_mul_u32_u24_e32 v5, 0x10e, v44
	v_lshrrev_b32_e32 v42, 8, v42
	v_mul_u32_u24_e32 v44, 0x10e, v43
	v_lshlrev_b64_e32 v[0:1], 2, v[1:2]
	v_lshlrev_b64_e32 v[3:4], 2, v[3:4]
	v_sub_nc_u32_e32 v5, v9, v5
	v_mul_u32_u24_e32 v39, 0x10e, v42
	v_sub_nc_u32_e32 v44, v41, v44
	s_delay_alu instid0(VALU_DEP_4) | instskip(NEXT) | instid1(VALU_DEP_3)
	v_add_co_u32 v45, s1, s10, v3
	v_sub_nc_u32_e32 v47, v40, v39
	s_delay_alu instid0(VALU_DEP_3)
	v_mad_u32_u24 v59, 0x32a, v43, v44
	s_wait_alu 0xf1fe
	v_add_co_ci_u32_e64 v46, s1, s11, v4, s1
	v_mad_co_u64_u32 v[3:4], null, s16, v5, 0
	v_mad_u32_u24 v58, 0x32a, v42, v47
	v_add_nc_u32_e32 v63, 0x21c, v59
	v_add_nc_u32_e32 v62, 0x10e, v59
	v_add_co_u32 v0, s1, v45, v0
	s_delay_alu instid0(VALU_DEP_4) | instskip(NEXT) | instid1(VALU_DEP_4)
	v_mad_co_u64_u32 v[43:44], null, s16, v58, 0
	v_mad_co_u64_u32 v[53:54], null, s16, v63, 0
	v_add_nc_u32_e32 v61, 0x21c, v58
	v_mad_co_u64_u32 v[51:52], null, s16, v62, 0
	v_add_nc_u32_e32 v57, 0x21c, v5
	v_add_nc_u32_e32 v60, 0x10e, v58
	s_delay_alu instid0(VALU_DEP_4) | instskip(SKIP_1) | instid1(VALU_DEP_4)
	v_mad_co_u64_u32 v[49:50], null, s16, v61, 0
	v_add_nc_u32_e32 v55, 0x10e, v5
	v_mad_co_u64_u32 v[41:42], null, s16, v57, 0
	v_mad_co_u64_u32 v[4:5], null, s17, v5, v[4:5]
	s_delay_alu instid0(VALU_DEP_3)
	v_mad_co_u64_u32 v[39:40], null, s16, v55, 0
	v_add_nc_u32_e32 v2, 0xf3, v9
	s_wait_alu 0xf1ff
	v_add_co_ci_u32_e64 v1, s1, v46, v1, s1
	v_mad_co_u64_u32 v[45:46], null, s16, v59, 0
	v_mad_co_u64_u32 v[47:48], null, s16, v60, 0
	v_dual_mov_b32 v5, v40 :: v_dual_mov_b32 v40, v42
	v_lshlrev_b64_e32 v[3:4], 2, v[3:4]
	v_cmp_gt_u32_e32 vcc_lo, 0x10e, v2
	s_delay_alu instid0(VALU_DEP_3) | instskip(SKIP_4) | instid1(VALU_DEP_4)
	v_mad_co_u64_u32 v[55:56], null, s17, v55, v[5:6]
	v_mov_b32_e32 v5, v44
	v_mad_co_u64_u32 v[56:57], null, s17, v57, v[40:41]
	v_mov_b32_e32 v40, v46
	v_mov_b32_e32 v44, v50
	v_mad_co_u64_u32 v[57:58], null, s17, v58, v[5:6]
	v_mov_b32_e32 v5, v48
	s_delay_alu instid0(VALU_DEP_4)
	v_mad_co_u64_u32 v[58:59], null, s17, v59, v[40:41]
	v_mov_b32_e32 v46, v52
	v_mov_b32_e32 v48, v54
	;; [unrolled: 1-line block ×3, first 2 shown]
	v_mad_co_u64_u32 v[54:55], null, s17, v60, v[5:6]
	v_mov_b32_e32 v42, v56
	v_mad_co_u64_u32 v[55:56], null, s17, v61, v[44:45]
	v_mad_co_u64_u32 v[59:60], null, s17, v62, v[46:47]
	;; [unrolled: 1-line block ×3, first 2 shown]
	v_mov_b32_e32 v44, v57
	v_mov_b32_e32 v46, v58
	;; [unrolled: 1-line block ×5, first 2 shown]
	v_lshlrev_b64_e32 v[39:40], 2, v[39:40]
	v_mov_b32_e32 v54, v60
	v_lshlrev_b64_e32 v[41:42], 2, v[41:42]
	v_add_co_u32 v3, s1, v0, v3
	s_wait_alu 0xf1ff
	v_add_co_ci_u32_e64 v4, s1, v1, v4, s1
	v_lshlrev_b64_e32 v[43:44], 2, v[43:44]
	v_add_co_u32 v39, s1, v0, v39
	s_wait_alu 0xf1ff
	v_add_co_ci_u32_e64 v40, s1, v1, v40, s1
	;; [unrolled: 4-line block ×7, first 2 shown]
	v_add_co_u32 v51, s1, v0, v51
	s_wait_alu 0xf1ff
	v_add_co_ci_u32_e64 v52, s1, v1, v52, s1
	v_add_co_u32 v53, s1, v0, v53
	s_wait_alu 0xf1ff
	v_add_co_ci_u32_e64 v54, s1, v1, v54, s1
	s_wait_loadcnt 0x2
	v_lshrrev_b32_e32 v5, 16, v10
	v_lshrrev_b32_e32 v55, 16, v11
	s_delay_alu instid0(VALU_DEP_2) | instskip(NEXT) | instid1(VALU_DEP_2)
	v_mul_f16_e32 v56, v27, v5
	v_mul_f16_e32 v57, v26, v55
	s_wait_dscnt 0x0
	v_mul_f16_e32 v5, v36, v5
	v_mul_f16_e32 v55, v35, v55
	s_wait_loadcnt 0x1
	v_lshrrev_b32_e32 v58, 16, v37
	v_lshrrev_b32_e32 v59, 16, v38
	s_wait_loadcnt 0x0
	v_lshrrev_b32_e32 v60, 16, v7
	v_lshrrev_b32_e32 v61, 16, v8
	v_fma_f16 v36, v36, v10, -v56
	v_fma_f16 v35, v35, v11, -v57
	v_fmac_f16_e32 v5, v27, v10
	v_fmac_f16_e32 v55, v26, v11
	v_mul_f16_e32 v10, v23, v58
	v_mul_f16_e32 v11, v24, v59
	;; [unrolled: 1-line block ×8, first 2 shown]
	v_add_f16_e32 v60, v36, v35
	v_add_f16_e32 v62, v31, v36
	v_add_f16_e32 v63, v5, v55
	v_fma_f16 v10, v32, v37, -v10
	v_fma_f16 v11, v33, v38, -v11
	v_fmac_f16_e32 v26, v23, v37
	v_fmac_f16_e32 v27, v24, v38
	v_fma_f16 v23, v30, v7, -v56
	v_fma_f16 v24, v34, v8, -v57
	v_fmac_f16_e32 v58, v21, v7
	v_fmac_f16_e32 v59, v25, v8
	v_sub_f16_e32 v61, v5, v55
	v_sub_f16_e32 v36, v36, v35
	v_add_f16_e32 v5, v22, v5
	v_fma_f16 v7, -0.5, v60, v31
	v_add_f16_e32 v8, v62, v35
	v_fma_f16 v21, -0.5, v63, v22
	v_add_f16_e32 v22, v10, v11
	v_sub_f16_e32 v25, v26, v27
	v_add_f16_e32 v31, v26, v27
	v_add_f16_e32 v26, v20, v26
	;; [unrolled: 1-line block ×8, first 2 shown]
	v_sub_f16_e32 v10, v10, v11
	v_sub_f16_e32 v33, v58, v59
	;; [unrolled: 1-line block ×3, first 2 shown]
	v_fma_f16 v22, -0.5, v22, v29
	v_fma_f16 v20, -0.5, v31, v20
	v_add_f16_e32 v26, v26, v27
	v_fma_f16 v27, -0.5, v32, v28
	v_fma_f16 v19, -0.5, v35, v19
	v_add_f16_e32 v24, v34, v24
	v_add_f16_e32 v28, v37, v59
	v_pack_b32_f16 v5, v5, v8
	v_fmamk_f16 v8, v25, 0xbaee, v22
	v_fmac_f16_e32 v22, 0x3aee, v25
	v_fmamk_f16 v25, v10, 0x3aee, v20
	v_fmac_f16_e32 v20, 0xbaee, v10
	v_fmamk_f16 v10, v33, 0xbaee, v27
	v_fmac_f16_e32 v27, 0x3aee, v33
	v_fmamk_f16 v29, v23, 0x3aee, v19
	v_fmac_f16_e32 v19, 0xbaee, v23
	v_add_f16_e32 v11, v30, v11
	v_pack_b32_f16 v23, v28, v24
	v_fmamk_f16 v38, v61, 0xbaee, v7
	v_fmac_f16_e32 v7, 0x3aee, v61
	v_fmamk_f16 v55, v36, 0x3aee, v21
	v_fmac_f16_e32 v21, 0xbaee, v36
	v_pack_b32_f16 v19, v19, v27
	v_pack_b32_f16 v10, v29, v10
	;; [unrolled: 1-line block ×3, first 2 shown]
	global_store_b32 v[3:4], v23, off
	v_pack_b32_f16 v3, v20, v22
	v_pack_b32_f16 v4, v25, v8
	;; [unrolled: 1-line block ×4, first 2 shown]
	s_clause 0x7
	global_store_b32 v[39:40], v19, off
	global_store_b32 v[41:42], v10, off
	;; [unrolled: 1-line block ×8, first 2 shown]
	s_and_b32 exec_lo, exec_lo, vcc_lo
	s_cbranch_execz .LBB0_42
; %bb.41:
	v_subrev_nc_u32_e32 v3, 27, v9
	v_add_nc_u32_e32 v19, 0x201, v9
	v_add_nc_u32_e32 v21, 0x30f, v9
	s_delay_alu instid0(VALU_DEP_3) | instskip(NEXT) | instid1(VALU_DEP_3)
	v_cndmask_b32_e64 v3, v3, v12, s0
	v_mad_co_u64_u32 v[7:8], null, s16, v19, 0
	s_delay_alu instid0(VALU_DEP_3) | instskip(NEXT) | instid1(VALU_DEP_3)
	v_mad_co_u64_u32 v[9:10], null, s16, v21, 0
	v_lshlrev_b32_e32 v5, 1, v3
	s_delay_alu instid0(VALU_DEP_1) | instskip(SKIP_1) | instid1(VALU_DEP_4)
	v_lshlrev_b64_e32 v[3:4], 2, v[5:6]
	v_mad_co_u64_u32 v[5:6], null, s16, v2, 0
	v_mad_co_u64_u32 v[19:20], null, s17, v19, v[8:9]
	s_delay_alu instid0(VALU_DEP_3) | instskip(SKIP_1) | instid1(VALU_DEP_4)
	v_add_co_u32 v3, vcc_lo, s4, v3
	s_wait_alu 0xfffd
	v_add_co_ci_u32_e32 v4, vcc_lo, s5, v4, vcc_lo
	s_delay_alu instid0(VALU_DEP_4) | instskip(NEXT) | instid1(VALU_DEP_4)
	v_mad_co_u64_u32 v[11:12], null, s17, v2, v[6:7]
	v_mov_b32_e32 v8, v19
	global_load_b64 v[3:4], v[3:4], off offset:1068
	v_lshlrev_b64_e32 v[7:8], 2, v[7:8]
	v_mov_b32_e32 v6, v11
	v_mad_co_u64_u32 v[20:21], null, s17, v21, v[10:11]
	s_delay_alu instid0(VALU_DEP_2) | instskip(NEXT) | instid1(VALU_DEP_2)
	v_lshlrev_b64_e32 v[5:6], 2, v[5:6]
	v_mov_b32_e32 v10, v20
	s_delay_alu instid0(VALU_DEP_2) | instskip(SKIP_1) | instid1(VALU_DEP_3)
	v_add_co_u32 v5, vcc_lo, v0, v5
	s_wait_alu 0xfffd
	v_add_co_ci_u32_e32 v6, vcc_lo, v1, v6, vcc_lo
	s_delay_alu instid0(VALU_DEP_3) | instskip(SKIP_3) | instid1(VALU_DEP_2)
	v_lshlrev_b64_e32 v[9:10], 2, v[9:10]
	s_wait_loadcnt 0x0
	v_lshrrev_b32_e32 v2, 16, v3
	v_lshrrev_b32_e32 v11, 16, v4
	v_mul_f16_e32 v12, v18, v2
	v_mul_f16_e32 v2, v16, v2
	s_delay_alu instid0(VALU_DEP_3) | instskip(SKIP_1) | instid1(VALU_DEP_4)
	v_mul_f16_e32 v19, v14, v11
	v_mul_f16_e32 v11, v13, v11
	v_fmac_f16_e32 v12, v16, v3
	s_delay_alu instid0(VALU_DEP_4) | instskip(NEXT) | instid1(VALU_DEP_4)
	v_fma_f16 v16, v18, v3, -v2
	v_fmac_f16_e32 v19, v13, v4
	s_delay_alu instid0(VALU_DEP_4)
	v_fma_f16 v4, v14, v4, -v11
	v_add_co_u32 v2, vcc_lo, v0, v7
	s_wait_alu 0xfffd
	v_add_co_ci_u32_e32 v3, vcc_lo, v1, v8, vcc_lo
	v_add_f16_e32 v7, v12, v19
	v_add_f16_e32 v11, v16, v4
	;; [unrolled: 1-line block ×4, first 2 shown]
	v_sub_f16_e32 v13, v16, v4
	v_fmac_f16_e32 v15, -0.5, v7
	v_sub_f16_e32 v7, v12, v19
	v_fmac_f16_e32 v17, -0.5, v11
	v_add_f16_e32 v8, v8, v19
	v_add_f16_e32 v4, v14, v4
	v_fmamk_f16 v11, v13, 0xbaee, v15
	v_fmac_f16_e32 v15, 0x3aee, v13
	v_fmamk_f16 v12, v7, 0x3aee, v17
	v_fmac_f16_e32 v17, 0xbaee, v7
	v_add_co_u32 v0, vcc_lo, v0, v9
	v_pack_b32_f16 v4, v8, v4
	s_delay_alu instid0(VALU_DEP_4)
	v_pack_b32_f16 v7, v11, v12
	s_wait_alu 0xfffd
	v_add_co_ci_u32_e32 v1, vcc_lo, v1, v10, vcc_lo
	v_pack_b32_f16 v8, v15, v17
	s_clause 0x2
	global_store_b32 v[5:6], v4, off
	global_store_b32 v[2:3], v7, off
	;; [unrolled: 1-line block ×3, first 2 shown]
.LBB0_42:
	s_nop 0
	s_sendmsg sendmsg(MSG_DEALLOC_VGPRS)
	s_endpgm
	.section	.rodata,"a",@progbits
	.p2align	6, 0x0
	.amdhsa_kernel fft_rtc_back_len810_factors_3_10_3_3_3_wgs_81_tpt_81_halfLds_half_op_CI_CI_sbrr_dirReg
		.amdhsa_group_segment_fixed_size 0
		.amdhsa_private_segment_fixed_size 0
		.amdhsa_kernarg_size 104
		.amdhsa_user_sgpr_count 2
		.amdhsa_user_sgpr_dispatch_ptr 0
		.amdhsa_user_sgpr_queue_ptr 0
		.amdhsa_user_sgpr_kernarg_segment_ptr 1
		.amdhsa_user_sgpr_dispatch_id 0
		.amdhsa_user_sgpr_private_segment_size 0
		.amdhsa_wavefront_size32 1
		.amdhsa_uses_dynamic_stack 0
		.amdhsa_enable_private_segment 0
		.amdhsa_system_sgpr_workgroup_id_x 1
		.amdhsa_system_sgpr_workgroup_id_y 0
		.amdhsa_system_sgpr_workgroup_id_z 0
		.amdhsa_system_sgpr_workgroup_info 0
		.amdhsa_system_vgpr_workitem_id 0
		.amdhsa_next_free_vgpr 65
		.amdhsa_next_free_sgpr 43
		.amdhsa_reserve_vcc 1
		.amdhsa_float_round_mode_32 0
		.amdhsa_float_round_mode_16_64 0
		.amdhsa_float_denorm_mode_32 3
		.amdhsa_float_denorm_mode_16_64 3
		.amdhsa_fp16_overflow 0
		.amdhsa_workgroup_processor_mode 1
		.amdhsa_memory_ordered 1
		.amdhsa_forward_progress 0
		.amdhsa_round_robin_scheduling 0
		.amdhsa_exception_fp_ieee_invalid_op 0
		.amdhsa_exception_fp_denorm_src 0
		.amdhsa_exception_fp_ieee_div_zero 0
		.amdhsa_exception_fp_ieee_overflow 0
		.amdhsa_exception_fp_ieee_underflow 0
		.amdhsa_exception_fp_ieee_inexact 0
		.amdhsa_exception_int_div_zero 0
	.end_amdhsa_kernel
	.text
.Lfunc_end0:
	.size	fft_rtc_back_len810_factors_3_10_3_3_3_wgs_81_tpt_81_halfLds_half_op_CI_CI_sbrr_dirReg, .Lfunc_end0-fft_rtc_back_len810_factors_3_10_3_3_3_wgs_81_tpt_81_halfLds_half_op_CI_CI_sbrr_dirReg
                                        ; -- End function
	.section	.AMDGPU.csdata,"",@progbits
; Kernel info:
; codeLenInByte = 9784
; NumSgprs: 45
; NumVgprs: 65
; ScratchSize: 0
; MemoryBound: 0
; FloatMode: 240
; IeeeMode: 1
; LDSByteSize: 0 bytes/workgroup (compile time only)
; SGPRBlocks: 5
; VGPRBlocks: 8
; NumSGPRsForWavesPerEU: 45
; NumVGPRsForWavesPerEU: 65
; Occupancy: 16
; WaveLimiterHint : 1
; COMPUTE_PGM_RSRC2:SCRATCH_EN: 0
; COMPUTE_PGM_RSRC2:USER_SGPR: 2
; COMPUTE_PGM_RSRC2:TRAP_HANDLER: 0
; COMPUTE_PGM_RSRC2:TGID_X_EN: 1
; COMPUTE_PGM_RSRC2:TGID_Y_EN: 0
; COMPUTE_PGM_RSRC2:TGID_Z_EN: 0
; COMPUTE_PGM_RSRC2:TIDIG_COMP_CNT: 0
	.text
	.p2alignl 7, 3214868480
	.fill 96, 4, 3214868480
	.type	__hip_cuid_309520ada866d208,@object ; @__hip_cuid_309520ada866d208
	.section	.bss,"aw",@nobits
	.globl	__hip_cuid_309520ada866d208
__hip_cuid_309520ada866d208:
	.byte	0                               ; 0x0
	.size	__hip_cuid_309520ada866d208, 1

	.ident	"AMD clang version 19.0.0git (https://github.com/RadeonOpenCompute/llvm-project roc-6.4.0 25133 c7fe45cf4b819c5991fe208aaa96edf142730f1d)"
	.section	".note.GNU-stack","",@progbits
	.addrsig
	.addrsig_sym __hip_cuid_309520ada866d208
	.amdgpu_metadata
---
amdhsa.kernels:
  - .args:
      - .actual_access:  read_only
        .address_space:  global
        .offset:         0
        .size:           8
        .value_kind:     global_buffer
      - .offset:         8
        .size:           8
        .value_kind:     by_value
      - .actual_access:  read_only
        .address_space:  global
        .offset:         16
        .size:           8
        .value_kind:     global_buffer
      - .actual_access:  read_only
        .address_space:  global
        .offset:         24
        .size:           8
        .value_kind:     global_buffer
      - .actual_access:  read_only
        .address_space:  global
        .offset:         32
        .size:           8
        .value_kind:     global_buffer
      - .offset:         40
        .size:           8
        .value_kind:     by_value
      - .actual_access:  read_only
        .address_space:  global
        .offset:         48
        .size:           8
        .value_kind:     global_buffer
      - .actual_access:  read_only
        .address_space:  global
        .offset:         56
        .size:           8
        .value_kind:     global_buffer
      - .offset:         64
        .size:           4
        .value_kind:     by_value
      - .actual_access:  read_only
        .address_space:  global
        .offset:         72
        .size:           8
        .value_kind:     global_buffer
      - .actual_access:  read_only
        .address_space:  global
        .offset:         80
        .size:           8
        .value_kind:     global_buffer
      - .actual_access:  read_only
        .address_space:  global
        .offset:         88
        .size:           8
        .value_kind:     global_buffer
      - .actual_access:  write_only
        .address_space:  global
        .offset:         96
        .size:           8
        .value_kind:     global_buffer
    .group_segment_fixed_size: 0
    .kernarg_segment_align: 8
    .kernarg_segment_size: 104
    .language:       OpenCL C
    .language_version:
      - 2
      - 0
    .max_flat_workgroup_size: 81
    .name:           fft_rtc_back_len810_factors_3_10_3_3_3_wgs_81_tpt_81_halfLds_half_op_CI_CI_sbrr_dirReg
    .private_segment_fixed_size: 0
    .sgpr_count:     45
    .sgpr_spill_count: 0
    .symbol:         fft_rtc_back_len810_factors_3_10_3_3_3_wgs_81_tpt_81_halfLds_half_op_CI_CI_sbrr_dirReg.kd
    .uniform_work_group_size: 1
    .uses_dynamic_stack: false
    .vgpr_count:     65
    .vgpr_spill_count: 0
    .wavefront_size: 32
    .workgroup_processor_mode: 1
amdhsa.target:   amdgcn-amd-amdhsa--gfx1201
amdhsa.version:
  - 1
  - 2
...

	.end_amdgpu_metadata
